;; amdgpu-corpus repo=ROCm/rocm-examples kind=compiled arch=gfx906 opt=O3
	.amdgcn_target "amdgcn-amd-amdhsa--gfx906"
	.amdhsa_code_object_version 6
	.text
	.protected	_Z9transposePKiPiii     ; -- Begin function _Z9transposePKiPiii
	.globl	_Z9transposePKiPiii
	.p2align	8
	.type	_Z9transposePKiPiii,@function
_Z9transposePKiPiii:                    ; @_Z9transposePKiPiii
; %bb.0:
	s_load_dword s10, s[4:5], 0x24
	s_load_dwordx2 s[8:9], s[4:5], 0x10
	v_lshlrev_b32_e32 v5, 2, v1
	v_lshl_add_u32 v5, v0, 7, v5
	s_waitcnt lgkmcnt(0)
	s_lshr_b32 s0, s10, 16
	s_mul_i32 s7, s7, s0
	v_add_u32_e32 v2, s7, v1
	v_mul_lo_u32 v2, v2, s8
	s_load_dwordx4 s[0:3], s[4:5], 0x0
	s_and_b32 s4, s10, 0xffff
	s_mul_i32 s6, s6, s4
	v_add3_u32 v2, s6, v0, v2
	v_ashrrev_i32_e32 v3, 31, v2
	v_lshlrev_b64 v[2:3], 2, v[2:3]
	s_waitcnt lgkmcnt(0)
	v_mov_b32_e32 v4, s1
	v_add_co_u32_e32 v2, vcc, s0, v2
	v_addc_co_u32_e32 v3, vcc, v4, v3, vcc
	global_load_dword v2, v[2:3], off
	v_add_u32_e32 v4, s6, v1
	v_mul_lo_u32 v4, v4, s9
	v_lshlrev_b32_e32 v3, 2, v0
	v_lshl_add_u32 v3, v1, 7, v3
	v_add3_u32 v0, s7, v0, v4
	v_ashrrev_i32_e32 v1, 31, v0
	v_lshlrev_b64 v[0:1], 2, v[0:1]
	v_add_co_u32_e32 v0, vcc, s2, v0
	s_waitcnt vmcnt(0)
	ds_write_b32 v3, v2
	s_waitcnt lgkmcnt(0)
	s_barrier
	ds_read_b32 v2, v5
	v_mov_b32_e32 v3, s3
	v_addc_co_u32_e32 v1, vcc, v3, v1, vcc
	s_waitcnt lgkmcnt(0)
	global_store_dword v[0:1], v2, off
	s_endpgm
	.section	.rodata,"a",@progbits
	.p2align	6, 0x0
	.amdhsa_kernel _Z9transposePKiPiii
		.amdhsa_group_segment_fixed_size 4096
		.amdhsa_private_segment_fixed_size 0
		.amdhsa_kernarg_size 280
		.amdhsa_user_sgpr_count 6
		.amdhsa_user_sgpr_private_segment_buffer 1
		.amdhsa_user_sgpr_dispatch_ptr 0
		.amdhsa_user_sgpr_queue_ptr 0
		.amdhsa_user_sgpr_kernarg_segment_ptr 1
		.amdhsa_user_sgpr_dispatch_id 0
		.amdhsa_user_sgpr_flat_scratch_init 0
		.amdhsa_user_sgpr_private_segment_size 0
		.amdhsa_uses_dynamic_stack 0
		.amdhsa_system_sgpr_private_segment_wavefront_offset 0
		.amdhsa_system_sgpr_workgroup_id_x 1
		.amdhsa_system_sgpr_workgroup_id_y 1
		.amdhsa_system_sgpr_workgroup_id_z 0
		.amdhsa_system_sgpr_workgroup_info 0
		.amdhsa_system_vgpr_workitem_id 1
		.amdhsa_next_free_vgpr 29
		.amdhsa_next_free_sgpr 61
		.amdhsa_reserve_vcc 1
		.amdhsa_reserve_flat_scratch 0
		.amdhsa_float_round_mode_32 0
		.amdhsa_float_round_mode_16_64 0
		.amdhsa_float_denorm_mode_32 3
		.amdhsa_float_denorm_mode_16_64 3
		.amdhsa_dx10_clamp 1
		.amdhsa_ieee_mode 1
		.amdhsa_fp16_overflow 0
		.amdhsa_exception_fp_ieee_invalid_op 0
		.amdhsa_exception_fp_denorm_src 0
		.amdhsa_exception_fp_ieee_div_zero 0
		.amdhsa_exception_fp_ieee_overflow 0
		.amdhsa_exception_fp_ieee_underflow 0
		.amdhsa_exception_fp_ieee_inexact 0
		.amdhsa_exception_int_div_zero 0
	.end_amdhsa_kernel
	.text
.Lfunc_end0:
	.size	_Z9transposePKiPiii, .Lfunc_end0-_Z9transposePKiPiii
                                        ; -- End function
	.set _Z9transposePKiPiii.num_vgpr, 6
	.set _Z9transposePKiPiii.num_agpr, 0
	.set _Z9transposePKiPiii.numbered_sgpr, 11
	.set _Z9transposePKiPiii.num_named_barrier, 0
	.set _Z9transposePKiPiii.private_seg_size, 0
	.set _Z9transposePKiPiii.uses_vcc, 1
	.set _Z9transposePKiPiii.uses_flat_scratch, 0
	.set _Z9transposePKiPiii.has_dyn_sized_stack, 0
	.set _Z9transposePKiPiii.has_recursion, 0
	.set _Z9transposePKiPiii.has_indirect_call, 0
	.section	.AMDGPU.csdata,"",@progbits
; Kernel info:
; codeLenInByte = 216
; TotalNumSgprs: 15
; NumVgprs: 6
; ScratchSize: 0
; MemoryBound: 0
; FloatMode: 240
; IeeeMode: 1
; LDSByteSize: 4096 bytes/workgroup (compile time only)
; SGPRBlocks: 8
; VGPRBlocks: 7
; NumSGPRsForWavesPerEU: 65
; NumVGPRsForWavesPerEU: 29
; Occupancy: 8
; WaveLimiterHint : 0
; COMPUTE_PGM_RSRC2:SCRATCH_EN: 0
; COMPUTE_PGM_RSRC2:USER_SGPR: 6
; COMPUTE_PGM_RSRC2:TRAP_HANDLER: 0
; COMPUTE_PGM_RSRC2:TGID_X_EN: 1
; COMPUTE_PGM_RSRC2:TGID_Y_EN: 1
; COMPUTE_PGM_RSRC2:TGID_Z_EN: 0
; COMPUTE_PGM_RSRC2:TIDIG_COMP_CNT: 1
	.text
	.protected	_Z15test_kern_largePm   ; -- Begin function _Z15test_kern_largePm
	.globl	_Z15test_kern_largePm
	.p2align	8
	.type	_Z15test_kern_largePm,@function
_Z15test_kern_largePm:                  ; @_Z15test_kern_largePm
; %bb.0:
	s_add_u32 s0, s0, s7
	s_movk_i32 s6, 0xf060
	s_addc_u32 s1, s1, 0
	s_mov_b32 s8, 16
	s_mov_b32 s7, -1
	v_mov_b32_e32 v0, 0x5050505
.LBB1_1:                                ; =>This Inner Loop Header: Depth=1
	v_mov_b32_e32 v1, s8
	s_addk_i32 s8, 0x64
	s_add_u32 s6, s6, 0x64
	s_addc_u32 s7, s7, 0
	s_cmp_lg_u64 s[6:7], 0
	buffer_store_dword v0, v1, s[0:3], 0 offen
	buffer_store_dword v0, v1, s[0:3], 0 offen offset:4
	buffer_store_dword v0, v1, s[0:3], 0 offen offset:8
	;; [unrolled: 1-line block ×24, first 2 shown]
	s_cbranch_scc1 .LBB1_1
; %bb.2:
	s_load_dwordx2 s[4:5], s[4:5], 0x0
	s_mov_b32 s6, 0
	s_waitcnt lgkmcnt(0)
	s_load_dwordx2 s[8:9], s[4:5], 0x0
	s_waitcnt lgkmcnt(0)
	v_mov_b32_e32 v0, s8
	v_mov_b32_e32 v1, s9
.LBB1_3:                                ; =>This Inner Loop Header: Depth=1
	v_add_u32_e64 v2, s6, 16
	buffer_load_dword v3, v2, s[0:3], 0 offen
	buffer_load_dword v4, v2, s[0:3], 0 offen offset:4
	buffer_load_dword v5, v2, s[0:3], 0 offen offset:8
	;; [unrolled: 1-line block ×15, first 2 shown]
	s_add_i32 s6, s6, 64
	s_cmpk_eq_i32 s6, 0x3e80
	s_waitcnt vmcnt(15)
	v_add_u32_e32 v3, 7, v3
	v_ashrrev_i32_e32 v19, 31, v3
	v_add_co_u32_e32 v0, vcc, v0, v3
	s_waitcnt vmcnt(14)
	v_add_u32_e32 v4, 7, v4
	v_addc_co_u32_e32 v1, vcc, v1, v19, vcc
	buffer_store_dword v3, v2, s[0:3], 0 offen
	v_ashrrev_i32_e32 v3, 31, v4
	v_add_co_u32_e32 v0, vcc, v0, v4
	s_waitcnt vmcnt(14)
	v_add_u32_e32 v5, 7, v5
	v_addc_co_u32_e32 v1, vcc, v1, v3, vcc
	v_ashrrev_i32_e32 v19, 31, v5
	v_add_co_u32_e32 v0, vcc, v0, v5
	s_waitcnt vmcnt(13)
	v_add_u32_e32 v6, 7, v6
	v_addc_co_u32_e32 v1, vcc, v1, v19, vcc
	s_waitcnt vmcnt(12)
	v_add_u32_e32 v7, 7, v7
	s_waitcnt vmcnt(11)
	v_add_u32_e32 v8, 7, v8
	;; [unrolled: 2-line block ×12, first 2 shown]
	buffer_store_dword v4, v2, s[0:3], 0 offen offset:4
	buffer_store_dword v5, v2, s[0:3], 0 offen offset:8
	buffer_store_dword v6, v2, s[0:3], 0 offen offset:12
	buffer_store_dword v7, v2, s[0:3], 0 offen offset:16
	buffer_store_dword v8, v2, s[0:3], 0 offen offset:20
	buffer_store_dword v9, v2, s[0:3], 0 offen offset:24
	buffer_store_dword v10, v2, s[0:3], 0 offen offset:28
	buffer_store_dword v11, v2, s[0:3], 0 offen offset:32
	buffer_store_dword v12, v2, s[0:3], 0 offen offset:36
	buffer_store_dword v13, v2, s[0:3], 0 offen offset:40
	buffer_store_dword v14, v2, s[0:3], 0 offen offset:44
	buffer_store_dword v15, v2, s[0:3], 0 offen offset:48
	buffer_store_dword v16, v2, s[0:3], 0 offen offset:52
	buffer_store_dword v17, v2, s[0:3], 0 offen offset:56
	buffer_store_dword v18, v2, s[0:3], 0 offen offset:60
	v_ashrrev_i32_e32 v2, 31, v6
	v_add_co_u32_e32 v0, vcc, v0, v6
	v_addc_co_u32_e32 v1, vcc, v1, v2, vcc
	v_ashrrev_i32_e32 v4, 31, v7
	v_add_co_u32_e32 v0, vcc, v0, v7
	v_addc_co_u32_e32 v1, vcc, v1, v4, vcc
	;; [unrolled: 3-line block ×13, first 2 shown]
	s_cbranch_scc0 .LBB1_3
; %bb.4:
	v_mov_b32_e32 v2, 0
	global_store_dwordx2 v2, v[0:1], s[4:5]
	s_endpgm
	.section	.rodata,"a",@progbits
	.p2align	6, 0x0
	.amdhsa_kernel _Z15test_kern_largePm
		.amdhsa_group_segment_fixed_size 0
		.amdhsa_private_segment_fixed_size 16016
		.amdhsa_kernarg_size 8
		.amdhsa_user_sgpr_count 6
		.amdhsa_user_sgpr_private_segment_buffer 1
		.amdhsa_user_sgpr_dispatch_ptr 0
		.amdhsa_user_sgpr_queue_ptr 0
		.amdhsa_user_sgpr_kernarg_segment_ptr 1
		.amdhsa_user_sgpr_dispatch_id 0
		.amdhsa_user_sgpr_flat_scratch_init 0
		.amdhsa_user_sgpr_private_segment_size 0
		.amdhsa_uses_dynamic_stack 0
		.amdhsa_system_sgpr_private_segment_wavefront_offset 1
		.amdhsa_system_sgpr_workgroup_id_x 1
		.amdhsa_system_sgpr_workgroup_id_y 0
		.amdhsa_system_sgpr_workgroup_id_z 0
		.amdhsa_system_sgpr_workgroup_info 0
		.amdhsa_system_vgpr_workitem_id 0
		.amdhsa_next_free_vgpr 20
		.amdhsa_next_free_sgpr 10
		.amdhsa_reserve_vcc 1
		.amdhsa_reserve_flat_scratch 0
		.amdhsa_float_round_mode_32 0
		.amdhsa_float_round_mode_16_64 0
		.amdhsa_float_denorm_mode_32 3
		.amdhsa_float_denorm_mode_16_64 3
		.amdhsa_dx10_clamp 1
		.amdhsa_ieee_mode 1
		.amdhsa_fp16_overflow 0
		.amdhsa_exception_fp_ieee_invalid_op 0
		.amdhsa_exception_fp_denorm_src 0
		.amdhsa_exception_fp_ieee_div_zero 0
		.amdhsa_exception_fp_ieee_overflow 0
		.amdhsa_exception_fp_ieee_underflow 0
		.amdhsa_exception_fp_ieee_inexact 0
		.amdhsa_exception_int_div_zero 0
	.end_amdhsa_kernel
	.text
.Lfunc_end1:
	.size	_Z15test_kern_largePm, .Lfunc_end1-_Z15test_kern_largePm
                                        ; -- End function
	.set _Z15test_kern_largePm.num_vgpr, 20
	.set _Z15test_kern_largePm.num_agpr, 0
	.set _Z15test_kern_largePm.numbered_sgpr, 10
	.set _Z15test_kern_largePm.num_named_barrier, 0
	.set _Z15test_kern_largePm.private_seg_size, 16016
	.set _Z15test_kern_largePm.uses_vcc, 1
	.set _Z15test_kern_largePm.uses_flat_scratch, 0
	.set _Z15test_kern_largePm.has_dyn_sized_stack, 0
	.set _Z15test_kern_largePm.has_recursion, 0
	.set _Z15test_kern_largePm.has_indirect_call, 0
	.section	.AMDGPU.csdata,"",@progbits
; Kernel info:
; codeLenInByte = 904
; TotalNumSgprs: 14
; NumVgprs: 20
; ScratchSize: 16016
; MemoryBound: 0
; FloatMode: 240
; IeeeMode: 1
; LDSByteSize: 0 bytes/workgroup (compile time only)
; SGPRBlocks: 1
; VGPRBlocks: 4
; NumSGPRsForWavesPerEU: 14
; NumVGPRsForWavesPerEU: 20
; Occupancy: 10
; WaveLimiterHint : 0
; COMPUTE_PGM_RSRC2:SCRATCH_EN: 1
; COMPUTE_PGM_RSRC2:USER_SGPR: 6
; COMPUTE_PGM_RSRC2:TRAP_HANDLER: 0
; COMPUTE_PGM_RSRC2:TGID_X_EN: 1
; COMPUTE_PGM_RSRC2:TGID_Y_EN: 0
; COMPUTE_PGM_RSRC2:TGID_Z_EN: 0
; COMPUTE_PGM_RSRC2:TIDIG_COMP_CNT: 0
	.text
	.protected	_Z16test_kern_mediumPm  ; -- Begin function _Z16test_kern_mediumPm
	.globl	_Z16test_kern_mediumPm
	.p2align	8
	.type	_Z16test_kern_mediumPm,@function
_Z16test_kern_mediumPm:                 ; @_Z16test_kern_mediumPm
; %bb.0:
	s_load_dwordx2 s[0:1], s[4:5], 0x0
	v_mov_b32_e32 v2, 0
	s_waitcnt lgkmcnt(0)
	s_load_dwordx2 s[2:3], s[0:1], 0x0
	s_waitcnt lgkmcnt(0)
	s_add_u32 s2, s2, 0xd7dcde10
	s_addc_u32 s3, s3, 0
	v_mov_b32_e32 v0, s2
	v_mov_b32_e32 v1, s3
	global_store_dwordx2 v2, v[0:1], s[0:1]
	s_endpgm
	.section	.rodata,"a",@progbits
	.p2align	6, 0x0
	.amdhsa_kernel _Z16test_kern_mediumPm
		.amdhsa_group_segment_fixed_size 0
		.amdhsa_private_segment_fixed_size 0
		.amdhsa_kernarg_size 8
		.amdhsa_user_sgpr_count 6
		.amdhsa_user_sgpr_private_segment_buffer 1
		.amdhsa_user_sgpr_dispatch_ptr 0
		.amdhsa_user_sgpr_queue_ptr 0
		.amdhsa_user_sgpr_kernarg_segment_ptr 1
		.amdhsa_user_sgpr_dispatch_id 0
		.amdhsa_user_sgpr_flat_scratch_init 0
		.amdhsa_user_sgpr_private_segment_size 0
		.amdhsa_uses_dynamic_stack 0
		.amdhsa_system_sgpr_private_segment_wavefront_offset 0
		.amdhsa_system_sgpr_workgroup_id_x 1
		.amdhsa_system_sgpr_workgroup_id_y 0
		.amdhsa_system_sgpr_workgroup_id_z 0
		.amdhsa_system_sgpr_workgroup_info 0
		.amdhsa_system_vgpr_workitem_id 0
		.amdhsa_next_free_vgpr 3
		.amdhsa_next_free_sgpr 6
		.amdhsa_reserve_vcc 0
		.amdhsa_reserve_flat_scratch 0
		.amdhsa_float_round_mode_32 0
		.amdhsa_float_round_mode_16_64 0
		.amdhsa_float_denorm_mode_32 3
		.amdhsa_float_denorm_mode_16_64 3
		.amdhsa_dx10_clamp 1
		.amdhsa_ieee_mode 1
		.amdhsa_fp16_overflow 0
		.amdhsa_exception_fp_ieee_invalid_op 0
		.amdhsa_exception_fp_denorm_src 0
		.amdhsa_exception_fp_ieee_div_zero 0
		.amdhsa_exception_fp_ieee_overflow 0
		.amdhsa_exception_fp_ieee_underflow 0
		.amdhsa_exception_fp_ieee_inexact 0
		.amdhsa_exception_int_div_zero 0
	.end_amdhsa_kernel
	.text
.Lfunc_end2:
	.size	_Z16test_kern_mediumPm, .Lfunc_end2-_Z16test_kern_mediumPm
                                        ; -- End function
	.set _Z16test_kern_mediumPm.num_vgpr, 3
	.set _Z16test_kern_mediumPm.num_agpr, 0
	.set _Z16test_kern_mediumPm.numbered_sgpr, 6
	.set _Z16test_kern_mediumPm.num_named_barrier, 0
	.set _Z16test_kern_mediumPm.private_seg_size, 0
	.set _Z16test_kern_mediumPm.uses_vcc, 0
	.set _Z16test_kern_mediumPm.uses_flat_scratch, 0
	.set _Z16test_kern_mediumPm.has_dyn_sized_stack, 0
	.set _Z16test_kern_mediumPm.has_recursion, 0
	.set _Z16test_kern_mediumPm.has_indirect_call, 0
	.section	.AMDGPU.csdata,"",@progbits
; Kernel info:
; codeLenInByte = 60
; TotalNumSgprs: 10
; NumVgprs: 3
; ScratchSize: 0
; MemoryBound: 0
; FloatMode: 240
; IeeeMode: 1
; LDSByteSize: 0 bytes/workgroup (compile time only)
; SGPRBlocks: 1
; VGPRBlocks: 0
; NumSGPRsForWavesPerEU: 10
; NumVGPRsForWavesPerEU: 3
; Occupancy: 10
; WaveLimiterHint : 0
; COMPUTE_PGM_RSRC2:SCRATCH_EN: 0
; COMPUTE_PGM_RSRC2:USER_SGPR: 6
; COMPUTE_PGM_RSRC2:TRAP_HANDLER: 0
; COMPUTE_PGM_RSRC2:TGID_X_EN: 1
; COMPUTE_PGM_RSRC2:TGID_Y_EN: 0
; COMPUTE_PGM_RSRC2:TGID_Z_EN: 0
; COMPUTE_PGM_RSRC2:TIDIG_COMP_CNT: 0
	.text
	.protected	_Z15test_kern_smallPm   ; -- Begin function _Z15test_kern_smallPm
	.globl	_Z15test_kern_smallPm
	.p2align	8
	.type	_Z15test_kern_smallPm,@function
_Z15test_kern_smallPm:                  ; @_Z15test_kern_smallPm
; %bb.0:
	s_endpgm
	.section	.rodata,"a",@progbits
	.p2align	6, 0x0
	.amdhsa_kernel _Z15test_kern_smallPm
		.amdhsa_group_segment_fixed_size 0
		.amdhsa_private_segment_fixed_size 0
		.amdhsa_kernarg_size 8
		.amdhsa_user_sgpr_count 6
		.amdhsa_user_sgpr_private_segment_buffer 1
		.amdhsa_user_sgpr_dispatch_ptr 0
		.amdhsa_user_sgpr_queue_ptr 0
		.amdhsa_user_sgpr_kernarg_segment_ptr 1
		.amdhsa_user_sgpr_dispatch_id 0
		.amdhsa_user_sgpr_flat_scratch_init 0
		.amdhsa_user_sgpr_private_segment_size 0
		.amdhsa_uses_dynamic_stack 0
		.amdhsa_system_sgpr_private_segment_wavefront_offset 0
		.amdhsa_system_sgpr_workgroup_id_x 1
		.amdhsa_system_sgpr_workgroup_id_y 0
		.amdhsa_system_sgpr_workgroup_id_z 0
		.amdhsa_system_sgpr_workgroup_info 0
		.amdhsa_system_vgpr_workitem_id 0
		.amdhsa_next_free_vgpr 1
		.amdhsa_next_free_sgpr 0
		.amdhsa_reserve_vcc 0
		.amdhsa_reserve_flat_scratch 0
		.amdhsa_float_round_mode_32 0
		.amdhsa_float_round_mode_16_64 0
		.amdhsa_float_denorm_mode_32 3
		.amdhsa_float_denorm_mode_16_64 3
		.amdhsa_dx10_clamp 1
		.amdhsa_ieee_mode 1
		.amdhsa_fp16_overflow 0
		.amdhsa_exception_fp_ieee_invalid_op 0
		.amdhsa_exception_fp_denorm_src 0
		.amdhsa_exception_fp_ieee_div_zero 0
		.amdhsa_exception_fp_ieee_overflow 0
		.amdhsa_exception_fp_ieee_underflow 0
		.amdhsa_exception_fp_ieee_inexact 0
		.amdhsa_exception_int_div_zero 0
	.end_amdhsa_kernel
	.text
.Lfunc_end3:
	.size	_Z15test_kern_smallPm, .Lfunc_end3-_Z15test_kern_smallPm
                                        ; -- End function
	.set _Z15test_kern_smallPm.num_vgpr, 0
	.set _Z15test_kern_smallPm.num_agpr, 0
	.set _Z15test_kern_smallPm.numbered_sgpr, 0
	.set _Z15test_kern_smallPm.num_named_barrier, 0
	.set _Z15test_kern_smallPm.private_seg_size, 0
	.set _Z15test_kern_smallPm.uses_vcc, 0
	.set _Z15test_kern_smallPm.uses_flat_scratch, 0
	.set _Z15test_kern_smallPm.has_dyn_sized_stack, 0
	.set _Z15test_kern_smallPm.has_recursion, 0
	.set _Z15test_kern_smallPm.has_indirect_call, 0
	.section	.AMDGPU.csdata,"",@progbits
; Kernel info:
; codeLenInByte = 4
; TotalNumSgprs: 4
; NumVgprs: 0
; ScratchSize: 0
; MemoryBound: 0
; FloatMode: 240
; IeeeMode: 1
; LDSByteSize: 0 bytes/workgroup (compile time only)
; SGPRBlocks: 0
; VGPRBlocks: 0
; NumSGPRsForWavesPerEU: 4
; NumVGPRsForWavesPerEU: 1
; Occupancy: 10
; WaveLimiterHint : 0
; COMPUTE_PGM_RSRC2:SCRATCH_EN: 0
; COMPUTE_PGM_RSRC2:USER_SGPR: 6
; COMPUTE_PGM_RSRC2:TRAP_HANDLER: 0
; COMPUTE_PGM_RSRC2:TGID_X_EN: 1
; COMPUTE_PGM_RSRC2:TGID_Y_EN: 0
; COMPUTE_PGM_RSRC2:TGID_Z_EN: 0
; COMPUTE_PGM_RSRC2:TIDIG_COMP_CNT: 0
	.section	.text._Z17test_page_migrateImEvPT_S0_,"axG",@progbits,_Z17test_page_migrateImEvPT_S0_,comdat
	.protected	_Z17test_page_migrateImEvPT_S0_ ; -- Begin function _Z17test_page_migrateImEvPT_S0_
	.globl	_Z17test_page_migrateImEvPT_S0_
	.p2align	8
	.type	_Z17test_page_migrateImEvPT_S0_,@function
_Z17test_page_migrateImEvPT_S0_:        ; @_Z17test_page_migrateImEvPT_S0_
; %bb.0:
	s_load_dword s7, s[4:5], 0x1c
	s_load_dwordx4 s[0:3], s[4:5], 0x0
	s_waitcnt lgkmcnt(0)
	s_and_b32 s4, s7, 0xffff
	s_mul_i32 s6, s6, s4
	v_add_u32_e32 v0, s6, v0
	v_ashrrev_i32_e32 v1, 31, v0
	v_lshlrev_b64 v[0:1], 3, v[0:1]
	v_mov_b32_e32 v2, s1
	v_add_co_u32_e32 v0, vcc, s0, v0
	v_addc_co_u32_e32 v1, vcc, v2, v1, vcc
	global_load_dwordx2 v[2:3], v[0:1], off
	v_mov_b32_e32 v4, s3
	s_waitcnt vmcnt(0)
	v_add_co_u32_e32 v2, vcc, s2, v2
	v_addc_co_u32_e32 v3, vcc, v3, v4, vcc
	global_store_dwordx2 v[0:1], v[2:3], off
	s_endpgm
	.section	.rodata,"a",@progbits
	.p2align	6, 0x0
	.amdhsa_kernel _Z17test_page_migrateImEvPT_S0_
		.amdhsa_group_segment_fixed_size 0
		.amdhsa_private_segment_fixed_size 0
		.amdhsa_kernarg_size 272
		.amdhsa_user_sgpr_count 6
		.amdhsa_user_sgpr_private_segment_buffer 1
		.amdhsa_user_sgpr_dispatch_ptr 0
		.amdhsa_user_sgpr_queue_ptr 0
		.amdhsa_user_sgpr_kernarg_segment_ptr 1
		.amdhsa_user_sgpr_dispatch_id 0
		.amdhsa_user_sgpr_flat_scratch_init 0
		.amdhsa_user_sgpr_private_segment_size 0
		.amdhsa_uses_dynamic_stack 0
		.amdhsa_system_sgpr_private_segment_wavefront_offset 0
		.amdhsa_system_sgpr_workgroup_id_x 1
		.amdhsa_system_sgpr_workgroup_id_y 0
		.amdhsa_system_sgpr_workgroup_id_z 0
		.amdhsa_system_sgpr_workgroup_info 0
		.amdhsa_system_vgpr_workitem_id 0
		.amdhsa_next_free_vgpr 5
		.amdhsa_next_free_sgpr 8
		.amdhsa_reserve_vcc 1
		.amdhsa_reserve_flat_scratch 0
		.amdhsa_float_round_mode_32 0
		.amdhsa_float_round_mode_16_64 0
		.amdhsa_float_denorm_mode_32 3
		.amdhsa_float_denorm_mode_16_64 3
		.amdhsa_dx10_clamp 1
		.amdhsa_ieee_mode 1
		.amdhsa_fp16_overflow 0
		.amdhsa_exception_fp_ieee_invalid_op 0
		.amdhsa_exception_fp_denorm_src 0
		.amdhsa_exception_fp_ieee_div_zero 0
		.amdhsa_exception_fp_ieee_overflow 0
		.amdhsa_exception_fp_ieee_underflow 0
		.amdhsa_exception_fp_ieee_inexact 0
		.amdhsa_exception_int_div_zero 0
	.end_amdhsa_kernel
	.section	.text._Z17test_page_migrateImEvPT_S0_,"axG",@progbits,_Z17test_page_migrateImEvPT_S0_,comdat
.Lfunc_end4:
	.size	_Z17test_page_migrateImEvPT_S0_, .Lfunc_end4-_Z17test_page_migrateImEvPT_S0_
                                        ; -- End function
	.set _Z17test_page_migrateImEvPT_S0_.num_vgpr, 5
	.set _Z17test_page_migrateImEvPT_S0_.num_agpr, 0
	.set _Z17test_page_migrateImEvPT_S0_.numbered_sgpr, 8
	.set _Z17test_page_migrateImEvPT_S0_.num_named_barrier, 0
	.set _Z17test_page_migrateImEvPT_S0_.private_seg_size, 0
	.set _Z17test_page_migrateImEvPT_S0_.uses_vcc, 1
	.set _Z17test_page_migrateImEvPT_S0_.uses_flat_scratch, 0
	.set _Z17test_page_migrateImEvPT_S0_.has_dyn_sized_stack, 0
	.set _Z17test_page_migrateImEvPT_S0_.has_recursion, 0
	.set _Z17test_page_migrateImEvPT_S0_.has_indirect_call, 0
	.section	.AMDGPU.csdata,"",@progbits
; Kernel info:
; codeLenInByte = 96
; TotalNumSgprs: 12
; NumVgprs: 5
; ScratchSize: 0
; MemoryBound: 0
; FloatMode: 240
; IeeeMode: 1
; LDSByteSize: 0 bytes/workgroup (compile time only)
; SGPRBlocks: 1
; VGPRBlocks: 1
; NumSGPRsForWavesPerEU: 12
; NumVGPRsForWavesPerEU: 5
; Occupancy: 10
; WaveLimiterHint : 0
; COMPUTE_PGM_RSRC2:SCRATCH_EN: 0
; COMPUTE_PGM_RSRC2:USER_SGPR: 6
; COMPUTE_PGM_RSRC2:TRAP_HANDLER: 0
; COMPUTE_PGM_RSRC2:TGID_X_EN: 1
; COMPUTE_PGM_RSRC2:TGID_Y_EN: 0
; COMPUTE_PGM_RSRC2:TGID_Z_EN: 0
; COMPUTE_PGM_RSRC2:TIDIG_COMP_CNT: 0
	.section	.AMDGPU.gpr_maximums,"",@progbits
	.set amdgpu.max_num_vgpr, 0
	.set amdgpu.max_num_agpr, 0
	.set amdgpu.max_num_sgpr, 0
	.section	.AMDGPU.csdata,"",@progbits
	.type	__hip_cuid_147c00c2705853ca,@object ; @__hip_cuid_147c00c2705853ca
	.section	.bss,"aw",@nobits
	.globl	__hip_cuid_147c00c2705853ca
__hip_cuid_147c00c2705853ca:
	.byte	0                               ; 0x0
	.size	__hip_cuid_147c00c2705853ca, 1

	.ident	"AMD clang version 22.0.0git (https://github.com/RadeonOpenCompute/llvm-project roc-7.2.4 26084 f58b06dce1f9c15707c5f808fd002e18c2accf7e)"
	.section	".note.GNU-stack","",@progbits
	.addrsig
	.addrsig_sym __hip_cuid_147c00c2705853ca
	.amdgpu_metadata
---
amdhsa.kernels:
  - .args:
      - .address_space:  global
        .offset:         0
        .size:           8
        .value_kind:     global_buffer
      - .address_space:  global
        .offset:         8
        .size:           8
        .value_kind:     global_buffer
      - .offset:         16
        .size:           4
        .value_kind:     by_value
      - .offset:         20
        .size:           4
        .value_kind:     by_value
      - .offset:         24
        .size:           4
        .value_kind:     hidden_block_count_x
      - .offset:         28
        .size:           4
        .value_kind:     hidden_block_count_y
      - .offset:         32
        .size:           4
        .value_kind:     hidden_block_count_z
      - .offset:         36
        .size:           2
        .value_kind:     hidden_group_size_x
      - .offset:         38
        .size:           2
        .value_kind:     hidden_group_size_y
      - .offset:         40
        .size:           2
        .value_kind:     hidden_group_size_z
      - .offset:         42
        .size:           2
        .value_kind:     hidden_remainder_x
      - .offset:         44
        .size:           2
        .value_kind:     hidden_remainder_y
      - .offset:         46
        .size:           2
        .value_kind:     hidden_remainder_z
      - .offset:         64
        .size:           8
        .value_kind:     hidden_global_offset_x
      - .offset:         72
        .size:           8
        .value_kind:     hidden_global_offset_y
      - .offset:         80
        .size:           8
        .value_kind:     hidden_global_offset_z
      - .offset:         88
        .size:           2
        .value_kind:     hidden_grid_dims
    .group_segment_fixed_size: 4096
    .kernarg_segment_align: 8
    .kernarg_segment_size: 280
    .language:       OpenCL C
    .language_version:
      - 2
      - 0
    .max_flat_workgroup_size: 1024
    .name:           _Z9transposePKiPiii
    .private_segment_fixed_size: 0
    .sgpr_count:     15
    .sgpr_spill_count: 0
    .symbol:         _Z9transposePKiPiii.kd
    .uniform_work_group_size: 1
    .uses_dynamic_stack: false
    .vgpr_count:     6
    .vgpr_spill_count: 0
    .wavefront_size: 64
  - .args:
      - .address_space:  global
        .offset:         0
        .size:           8
        .value_kind:     global_buffer
    .group_segment_fixed_size: 0
    .kernarg_segment_align: 8
    .kernarg_segment_size: 8
    .language:       OpenCL C
    .language_version:
      - 2
      - 0
    .max_flat_workgroup_size: 1024
    .name:           _Z15test_kern_largePm
    .private_segment_fixed_size: 16016
    .sgpr_count:     14
    .sgpr_spill_count: 0
    .symbol:         _Z15test_kern_largePm.kd
    .uniform_work_group_size: 1
    .uses_dynamic_stack: false
    .vgpr_count:     20
    .vgpr_spill_count: 0
    .wavefront_size: 64
  - .args:
      - .address_space:  global
        .offset:         0
        .size:           8
        .value_kind:     global_buffer
    .group_segment_fixed_size: 0
    .kernarg_segment_align: 8
    .kernarg_segment_size: 8
    .language:       OpenCL C
    .language_version:
      - 2
      - 0
    .max_flat_workgroup_size: 1024
    .name:           _Z16test_kern_mediumPm
    .private_segment_fixed_size: 0
    .sgpr_count:     10
    .sgpr_spill_count: 0
    .symbol:         _Z16test_kern_mediumPm.kd
    .uniform_work_group_size: 1
    .uses_dynamic_stack: false
    .vgpr_count:     3
    .vgpr_spill_count: 0
    .wavefront_size: 64
  - .args:
      - .address_space:  global
        .offset:         0
        .size:           8
        .value_kind:     global_buffer
    .group_segment_fixed_size: 0
    .kernarg_segment_align: 8
    .kernarg_segment_size: 8
    .language:       OpenCL C
    .language_version:
      - 2
      - 0
    .max_flat_workgroup_size: 1024
    .name:           _Z15test_kern_smallPm
    .private_segment_fixed_size: 0
    .sgpr_count:     4
    .sgpr_spill_count: 0
    .symbol:         _Z15test_kern_smallPm.kd
    .uniform_work_group_size: 1
    .uses_dynamic_stack: false
    .vgpr_count:     0
    .vgpr_spill_count: 0
    .wavefront_size: 64
  - .args:
      - .address_space:  global
        .offset:         0
        .size:           8
        .value_kind:     global_buffer
      - .offset:         8
        .size:           8
        .value_kind:     by_value
      - .offset:         16
        .size:           4
        .value_kind:     hidden_block_count_x
      - .offset:         20
        .size:           4
        .value_kind:     hidden_block_count_y
      - .offset:         24
        .size:           4
        .value_kind:     hidden_block_count_z
      - .offset:         28
        .size:           2
        .value_kind:     hidden_group_size_x
      - .offset:         30
        .size:           2
        .value_kind:     hidden_group_size_y
      - .offset:         32
        .size:           2
        .value_kind:     hidden_group_size_z
      - .offset:         34
        .size:           2
        .value_kind:     hidden_remainder_x
      - .offset:         36
        .size:           2
        .value_kind:     hidden_remainder_y
      - .offset:         38
        .size:           2
        .value_kind:     hidden_remainder_z
      - .offset:         56
        .size:           8
        .value_kind:     hidden_global_offset_x
      - .offset:         64
        .size:           8
        .value_kind:     hidden_global_offset_y
      - .offset:         72
        .size:           8
        .value_kind:     hidden_global_offset_z
      - .offset:         80
        .size:           2
        .value_kind:     hidden_grid_dims
    .group_segment_fixed_size: 0
    .kernarg_segment_align: 8
    .kernarg_segment_size: 272
    .language:       OpenCL C
    .language_version:
      - 2
      - 0
    .max_flat_workgroup_size: 1024
    .name:           _Z17test_page_migrateImEvPT_S0_
    .private_segment_fixed_size: 0
    .sgpr_count:     12
    .sgpr_spill_count: 0
    .symbol:         _Z17test_page_migrateImEvPT_S0_.kd
    .uniform_work_group_size: 1
    .uses_dynamic_stack: false
    .vgpr_count:     5
    .vgpr_spill_count: 0
    .wavefront_size: 64
amdhsa.target:   amdgcn-amd-amdhsa--gfx906
amdhsa.version:
  - 1
  - 2
...

	.end_amdgpu_metadata
